;; amdgpu-corpus repo=ROCm/rocFFT kind=compiled arch=gfx1030 opt=O3
	.text
	.amdgcn_target "amdgcn-amd-amdhsa--gfx1030"
	.amdhsa_code_object_version 6
	.protected	fft_rtc_back_len1458_factors_6_3_3_3_3_3_wgs_243_tpt_243_halfLds_sp_ip_CI_unitstride_sbrr_dirReg ; -- Begin function fft_rtc_back_len1458_factors_6_3_3_3_3_3_wgs_243_tpt_243_halfLds_sp_ip_CI_unitstride_sbrr_dirReg
	.globl	fft_rtc_back_len1458_factors_6_3_3_3_3_3_wgs_243_tpt_243_halfLds_sp_ip_CI_unitstride_sbrr_dirReg
	.p2align	8
	.type	fft_rtc_back_len1458_factors_6_3_3_3_3_3_wgs_243_tpt_243_halfLds_sp_ip_CI_unitstride_sbrr_dirReg,@function
fft_rtc_back_len1458_factors_6_3_3_3_3_3_wgs_243_tpt_243_halfLds_sp_ip_CI_unitstride_sbrr_dirReg: ; @fft_rtc_back_len1458_factors_6_3_3_3_3_3_wgs_243_tpt_243_halfLds_sp_ip_CI_unitstride_sbrr_dirReg
; %bb.0:
	s_clause 0x2
	s_load_dwordx4 s[8:11], s[4:5], 0x0
	s_load_dwordx2 s[2:3], s[4:5], 0x50
	s_load_dwordx2 s[12:13], s[4:5], 0x18
	v_mul_u32_u24_e32 v1, 0x10e, v0
	v_mov_b32_e32 v3, 0
	v_add_nc_u32_sdwa v5, s6, v1 dst_sel:DWORD dst_unused:UNUSED_PAD src0_sel:DWORD src1_sel:WORD_1
	v_mov_b32_e32 v1, 0
	v_mov_b32_e32 v6, v3
	v_mov_b32_e32 v2, 0
	s_waitcnt lgkmcnt(0)
	v_cmp_lt_u64_e64 s0, s[10:11], 2
	s_and_b32 vcc_lo, exec_lo, s0
	s_cbranch_vccnz .LBB0_8
; %bb.1:
	s_load_dwordx2 s[0:1], s[4:5], 0x10
	v_mov_b32_e32 v1, 0
	s_add_u32 s6, s12, 8
	v_mov_b32_e32 v2, 0
	s_addc_u32 s7, s13, 0
	s_mov_b64 s[16:17], 1
	s_waitcnt lgkmcnt(0)
	s_add_u32 s14, s0, 8
	s_addc_u32 s15, s1, 0
.LBB0_2:                                ; =>This Inner Loop Header: Depth=1
	s_load_dwordx2 s[18:19], s[14:15], 0x0
                                        ; implicit-def: $vgpr7_vgpr8
	s_mov_b32 s0, exec_lo
	s_waitcnt lgkmcnt(0)
	v_or_b32_e32 v4, s19, v6
	v_cmpx_ne_u64_e32 0, v[3:4]
	s_xor_b32 s1, exec_lo, s0
	s_cbranch_execz .LBB0_4
; %bb.3:                                ;   in Loop: Header=BB0_2 Depth=1
	v_cvt_f32_u32_e32 v4, s18
	v_cvt_f32_u32_e32 v7, s19
	s_sub_u32 s0, 0, s18
	s_subb_u32 s20, 0, s19
	v_fmac_f32_e32 v4, 0x4f800000, v7
	v_rcp_f32_e32 v4, v4
	v_mul_f32_e32 v4, 0x5f7ffffc, v4
	v_mul_f32_e32 v7, 0x2f800000, v4
	v_trunc_f32_e32 v7, v7
	v_fmac_f32_e32 v4, 0xcf800000, v7
	v_cvt_u32_f32_e32 v7, v7
	v_cvt_u32_f32_e32 v4, v4
	v_mul_lo_u32 v8, s0, v7
	v_mul_hi_u32 v9, s0, v4
	v_mul_lo_u32 v10, s20, v4
	v_add_nc_u32_e32 v8, v9, v8
	v_mul_lo_u32 v9, s0, v4
	v_add_nc_u32_e32 v8, v8, v10
	v_mul_hi_u32 v10, v4, v9
	v_mul_lo_u32 v11, v4, v8
	v_mul_hi_u32 v12, v4, v8
	v_mul_hi_u32 v13, v7, v9
	v_mul_lo_u32 v9, v7, v9
	v_mul_hi_u32 v14, v7, v8
	v_mul_lo_u32 v8, v7, v8
	v_add_co_u32 v10, vcc_lo, v10, v11
	v_add_co_ci_u32_e32 v11, vcc_lo, 0, v12, vcc_lo
	v_add_co_u32 v9, vcc_lo, v10, v9
	v_add_co_ci_u32_e32 v9, vcc_lo, v11, v13, vcc_lo
	v_add_co_ci_u32_e32 v10, vcc_lo, 0, v14, vcc_lo
	v_add_co_u32 v8, vcc_lo, v9, v8
	v_add_co_ci_u32_e32 v9, vcc_lo, 0, v10, vcc_lo
	v_add_co_u32 v4, vcc_lo, v4, v8
	v_add_co_ci_u32_e32 v7, vcc_lo, v7, v9, vcc_lo
	v_mul_hi_u32 v8, s0, v4
	v_mul_lo_u32 v10, s20, v4
	v_mul_lo_u32 v9, s0, v7
	v_add_nc_u32_e32 v8, v8, v9
	v_mul_lo_u32 v9, s0, v4
	v_add_nc_u32_e32 v8, v8, v10
	v_mul_hi_u32 v10, v4, v9
	v_mul_lo_u32 v11, v4, v8
	v_mul_hi_u32 v12, v4, v8
	v_mul_hi_u32 v13, v7, v9
	v_mul_lo_u32 v9, v7, v9
	v_mul_hi_u32 v14, v7, v8
	v_mul_lo_u32 v8, v7, v8
	v_add_co_u32 v10, vcc_lo, v10, v11
	v_add_co_ci_u32_e32 v11, vcc_lo, 0, v12, vcc_lo
	v_add_co_u32 v9, vcc_lo, v10, v9
	v_add_co_ci_u32_e32 v9, vcc_lo, v11, v13, vcc_lo
	v_add_co_ci_u32_e32 v10, vcc_lo, 0, v14, vcc_lo
	v_add_co_u32 v8, vcc_lo, v9, v8
	v_add_co_ci_u32_e32 v9, vcc_lo, 0, v10, vcc_lo
	v_add_co_u32 v4, vcc_lo, v4, v8
	v_add_co_ci_u32_e32 v11, vcc_lo, v7, v9, vcc_lo
	v_mul_hi_u32 v13, v5, v4
	v_mad_u64_u32 v[9:10], null, v6, v4, 0
	v_mad_u64_u32 v[7:8], null, v5, v11, 0
	;; [unrolled: 1-line block ×3, first 2 shown]
	v_add_co_u32 v4, vcc_lo, v13, v7
	v_add_co_ci_u32_e32 v7, vcc_lo, 0, v8, vcc_lo
	v_add_co_u32 v4, vcc_lo, v4, v9
	v_add_co_ci_u32_e32 v4, vcc_lo, v7, v10, vcc_lo
	v_add_co_ci_u32_e32 v7, vcc_lo, 0, v12, vcc_lo
	v_add_co_u32 v4, vcc_lo, v4, v11
	v_add_co_ci_u32_e32 v9, vcc_lo, 0, v7, vcc_lo
	v_mul_lo_u32 v10, s19, v4
	v_mad_u64_u32 v[7:8], null, s18, v4, 0
	v_mul_lo_u32 v11, s18, v9
	v_sub_co_u32 v7, vcc_lo, v5, v7
	v_add3_u32 v8, v8, v11, v10
	v_sub_nc_u32_e32 v10, v6, v8
	v_subrev_co_ci_u32_e64 v10, s0, s19, v10, vcc_lo
	v_add_co_u32 v11, s0, v4, 2
	v_add_co_ci_u32_e64 v12, s0, 0, v9, s0
	v_sub_co_u32 v13, s0, v7, s18
	v_sub_co_ci_u32_e32 v8, vcc_lo, v6, v8, vcc_lo
	v_subrev_co_ci_u32_e64 v10, s0, 0, v10, s0
	v_cmp_le_u32_e32 vcc_lo, s18, v13
	v_cmp_eq_u32_e64 s0, s19, v8
	v_cndmask_b32_e64 v13, 0, -1, vcc_lo
	v_cmp_le_u32_e32 vcc_lo, s19, v10
	v_cndmask_b32_e64 v14, 0, -1, vcc_lo
	v_cmp_le_u32_e32 vcc_lo, s18, v7
	;; [unrolled: 2-line block ×3, first 2 shown]
	v_cndmask_b32_e64 v15, 0, -1, vcc_lo
	v_cmp_eq_u32_e32 vcc_lo, s19, v10
	v_cndmask_b32_e64 v7, v15, v7, s0
	v_cndmask_b32_e32 v10, v14, v13, vcc_lo
	v_add_co_u32 v13, vcc_lo, v4, 1
	v_add_co_ci_u32_e32 v14, vcc_lo, 0, v9, vcc_lo
	v_cmp_ne_u32_e32 vcc_lo, 0, v10
	v_cndmask_b32_e32 v8, v14, v12, vcc_lo
	v_cndmask_b32_e32 v10, v13, v11, vcc_lo
	v_cmp_ne_u32_e32 vcc_lo, 0, v7
	v_cndmask_b32_e32 v8, v9, v8, vcc_lo
	v_cndmask_b32_e32 v7, v4, v10, vcc_lo
.LBB0_4:                                ;   in Loop: Header=BB0_2 Depth=1
	s_andn2_saveexec_b32 s0, s1
	s_cbranch_execz .LBB0_6
; %bb.5:                                ;   in Loop: Header=BB0_2 Depth=1
	v_cvt_f32_u32_e32 v4, s18
	s_sub_i32 s1, 0, s18
	v_rcp_iflag_f32_e32 v4, v4
	v_mul_f32_e32 v4, 0x4f7ffffe, v4
	v_cvt_u32_f32_e32 v4, v4
	v_mul_lo_u32 v7, s1, v4
	v_mul_hi_u32 v7, v4, v7
	v_add_nc_u32_e32 v4, v4, v7
	v_mul_hi_u32 v4, v5, v4
	v_mul_lo_u32 v7, v4, s18
	v_add_nc_u32_e32 v8, 1, v4
	v_sub_nc_u32_e32 v7, v5, v7
	v_subrev_nc_u32_e32 v9, s18, v7
	v_cmp_le_u32_e32 vcc_lo, s18, v7
	v_cndmask_b32_e32 v7, v7, v9, vcc_lo
	v_cndmask_b32_e32 v4, v4, v8, vcc_lo
	v_cmp_le_u32_e32 vcc_lo, s18, v7
	v_add_nc_u32_e32 v8, 1, v4
	v_cndmask_b32_e32 v7, v4, v8, vcc_lo
	v_mov_b32_e32 v8, v3
.LBB0_6:                                ;   in Loop: Header=BB0_2 Depth=1
	s_or_b32 exec_lo, exec_lo, s0
	s_load_dwordx2 s[0:1], s[6:7], 0x0
	v_mul_lo_u32 v4, v8, s18
	v_mul_lo_u32 v11, v7, s19
	v_mad_u64_u32 v[9:10], null, v7, s18, 0
	s_add_u32 s16, s16, 1
	s_addc_u32 s17, s17, 0
	s_add_u32 s6, s6, 8
	s_addc_u32 s7, s7, 0
	;; [unrolled: 2-line block ×3, first 2 shown]
	v_add3_u32 v4, v10, v11, v4
	v_sub_co_u32 v5, vcc_lo, v5, v9
	v_sub_co_ci_u32_e32 v4, vcc_lo, v6, v4, vcc_lo
	s_waitcnt lgkmcnt(0)
	v_mul_lo_u32 v6, s1, v5
	v_mul_lo_u32 v4, s0, v4
	v_mad_u64_u32 v[1:2], null, s0, v5, v[1:2]
	v_cmp_ge_u64_e64 s0, s[16:17], s[10:11]
	s_and_b32 vcc_lo, exec_lo, s0
	v_add3_u32 v2, v6, v2, v4
	s_cbranch_vccnz .LBB0_9
; %bb.7:                                ;   in Loop: Header=BB0_2 Depth=1
	v_mov_b32_e32 v5, v7
	v_mov_b32_e32 v6, v8
	s_branch .LBB0_2
.LBB0_8:
	v_mov_b32_e32 v8, v6
	v_mov_b32_e32 v7, v5
.LBB0_9:
	s_lshl_b64 s[0:1], s[10:11], 3
	v_mul_hi_u32 v5, 0x10db20b, v0
	s_add_u32 s0, s12, s0
	s_addc_u32 s1, s13, s1
                                        ; implicit-def: $vgpr9
                                        ; implicit-def: $vgpr13
                                        ; implicit-def: $vgpr11
                                        ; implicit-def: $vgpr15
	s_load_dwordx2 s[0:1], s[0:1], 0x0
	s_load_dwordx2 s[4:5], s[4:5], 0x20
	s_waitcnt lgkmcnt(0)
	v_mul_lo_u32 v3, s0, v8
	v_mul_lo_u32 v4, s1, v7
	v_mad_u64_u32 v[1:2], null, s0, v7, v[1:2]
	v_cmp_gt_u64_e32 vcc_lo, s[4:5], v[7:8]
                                        ; implicit-def: $vgpr7
	v_add3_u32 v2, v4, v2, v3
	v_mul_u32_u24_e32 v4, 0xf3, v5
                                        ; implicit-def: $vgpr5
	v_lshlrev_b64 v[2:3], 3, v[1:2]
	v_sub_nc_u32_e32 v0, v0, v4
	s_and_saveexec_b32 s1, vcc_lo
	s_cbranch_execz .LBB0_11
; %bb.10:
	v_mov_b32_e32 v1, 0
	v_lshlrev_b64 v[4:5], 3, v[0:1]
	v_add_co_u32 v1, s0, s2, v2
	v_add_co_ci_u32_e64 v7, s0, s3, v3, s0
	v_add_co_u32 v6, s0, v1, v4
	v_add_co_ci_u32_e64 v7, s0, v7, v5, s0
	;; [unrolled: 2-line block ×6, first 2 shown]
	s_clause 0x5
	global_load_dwordx2 v[4:5], v[6:7], off
	global_load_dwordx2 v[6:7], v[6:7], off offset:1944
	global_load_dwordx2 v[14:15], v[8:9], off offset:1840
	;; [unrolled: 1-line block ×5, first 2 shown]
.LBB0_11:
	s_or_b32 exec_lo, exec_lo, s1
	s_waitcnt vmcnt(1)
	v_add_f32_e32 v1, v12, v14
	v_add_f32_e32 v16, v14, v4
	v_sub_f32_e32 v17, v15, v13
	v_add_f32_e32 v18, v15, v5
	v_mov_b32_e32 v33, 4
	v_fmac_f32_e32 v4, -0.5, v1
	v_add_f32_e32 v1, v13, v15
	s_waitcnt vmcnt(0)
	v_add_f32_e32 v15, v9, v11
	v_add_f32_e32 v19, v13, v18
	v_add_f32_e32 v13, v11, v7
	v_add_f32_e32 v16, v12, v16
	v_fmac_f32_e32 v5, -0.5, v1
	v_add_f32_e32 v1, v8, v10
	v_fmac_f32_e32 v7, -0.5, v15
	v_sub_f32_e32 v15, v10, v8
	v_sub_f32_e32 v12, v14, v12
	v_add_f32_e32 v10, v10, v6
	v_fmac_f32_e32 v6, -0.5, v1
	v_sub_f32_e32 v1, v11, v9
	v_fmamk_f32 v11, v15, 0x3f5db3d7, v7
	v_fmac_f32_e32 v7, 0xbf5db3d7, v15
	v_fmamk_f32 v18, v17, 0xbf5db3d7, v4
	v_fmac_f32_e32 v4, 0x3f5db3d7, v17
	;; [unrolled: 2-line block ×3, first 2 shown]
	v_fmamk_f32 v12, v1, 0xbf5db3d7, v6
	v_mul_f32_e32 v17, 0xbf5db3d7, v11
	v_fmac_f32_e32 v6, 0x3f5db3d7, v1
	v_mul_f32_e32 v1, 0xbf5db3d7, v7
	v_mul_f32_e32 v23, -0.5, v7
	v_add_f32_e32 v10, v8, v10
	v_fmac_f32_e32 v17, 0.5, v12
	v_add_f32_e32 v21, v9, v13
	v_fmac_f32_e32 v1, -0.5, v6
	v_fmac_f32_e32 v23, 0x3f5db3d7, v6
	v_mul_u32_u24_e32 v6, 6, v0
	v_mul_f32_e32 v22, 0x3f5db3d7, v12
	v_add_f32_e32 v7, v10, v16
	v_add_f32_e32 v8, v18, v17
	;; [unrolled: 1-line block ×3, first 2 shown]
	v_sub_f32_e32 v10, v16, v10
	v_lshl_add_u32 v12, v6, 2, 0
	v_sub_f32_e32 v17, v18, v17
	v_sub_f32_e32 v18, v4, v1
	v_add_nc_u32_e32 v1, 0xf3, v0
	v_fmac_f32_e32 v22, 0.5, v11
	ds_write2_b64 v12, v[7:8], v[9:10] offset1:1
	v_and_b32_e32 v9, 0xff, v0
	v_mov_b32_e32 v10, 0xaaab
	ds_write_b64 v12, v[17:18] offset:16
	v_mad_i32_i24 v6, 0xffffffec, v0, v12
	v_add_f32_e32 v13, v21, v19
	v_mul_lo_u16 v7, 0xab, v9
	v_add_f32_e32 v14, v20, v22
	v_add_f32_e32 v15, v5, v23
	v_sub_f32_e32 v16, v19, v21
	v_sub_f32_e32 v4, v20, v22
	v_lshrrev_b16 v11, 10, v7
	v_mul_u32_u24_sdwa v7, v1, v10 dst_sel:DWORD dst_unused:UNUSED_PAD src0_sel:WORD_0 src1_sel:DWORD
	v_add_nc_u32_e32 v10, 0xf00, v6
	v_sub_f32_e32 v5, v5, v23
	v_add_nc_u32_e32 v8, 0x780, v6
	v_mul_lo_u16 v17, v11, 6
	v_lshrrev_b32_e32 v29, 18, v7
	s_waitcnt lgkmcnt(0)
	s_barrier
	buffer_gl0_inv
	v_sub_nc_u16 v30, v0, v17
	v_mul_lo_u16 v7, v29, 6
	ds_read2_b32 v[21:22], v6 offset1:243
	ds_read2_b32 v[23:24], v8 offset0:6 offset1:249
	ds_read2_b32 v[25:26], v10 offset0:12 offset1:255
	s_waitcnt lgkmcnt(0)
	s_barrier
	v_sub_nc_u16 v31, v1, v7
	buffer_gl0_inv
	ds_write2_b64 v12, v[13:14], v[15:16] offset1:1
	ds_write_b64 v12, v[4:5] offset:16
	v_lshlrev_b32_sdwa v4, v33, v30 dst_sel:DWORD dst_unused:UNUSED_PAD src0_sel:DWORD src1_sel:BYTE_0
	s_waitcnt lgkmcnt(0)
	v_lshlrev_b32_sdwa v5, v33, v31 dst_sel:DWORD dst_unused:UNUSED_PAD src0_sel:DWORD src1_sel:WORD_0
	s_barrier
	buffer_gl0_inv
	s_clause 0x1
	global_load_dwordx4 v[13:16], v4, s[8:9]
	global_load_dwordx4 v[17:20], v5, s[8:9]
	v_mov_b32_e32 v4, 0xe38f
	v_mul_lo_u16 v5, v9, 57
	ds_read2_b32 v[27:28], v10 offset0:12 offset1:255
	v_mov_b32_e32 v35, 0x48
	v_mov_b32_e32 v7, 2
	v_mul_u32_u24_sdwa v4, v1, v4 dst_sel:DWORD dst_unused:UNUSED_PAD src0_sel:WORD_0 src1_sel:DWORD
	v_lshrrev_b16 v32, 10, v5
	v_mul_lo_u16 v9, v9, 19
	v_mul_u32_u24_sdwa v11, v11, v35 dst_sel:DWORD dst_unused:UNUSED_PAD src0_sel:WORD_0 src1_sel:DWORD
	v_lshlrev_b32_sdwa v38, v7, v30 dst_sel:DWORD dst_unused:UNUSED_PAD src0_sel:DWORD src1_sel:BYTE_0
	v_lshrrev_b32_e32 v34, 20, v4
	ds_read2_b32 v[4:5], v8 offset0:6 offset1:249
	v_mul_lo_u16 v36, v32, 18
	v_lshlrev_b32_sdwa v31, v7, v31 dst_sel:DWORD dst_unused:UNUSED_PAD src0_sel:DWORD src1_sel:WORD_0
	v_add3_u32 v11, 0, v11, v38
	v_mul_lo_u16 v37, v34, 18
	v_lshrrev_b16 v9, 10, v9
	v_sub_nc_u16 v35, v0, v36
	v_cmp_gt_u32_e64 s0, 0xa2, v0
	v_sub_nc_u16 v36, v1, v37
	v_mul_u32_u24_e32 v37, 0x48, v29
	ds_read2_b32 v[29:30], v6 offset1:243
	v_lshlrev_b32_sdwa v39, v33, v35 dst_sel:DWORD dst_unused:UNUSED_PAD src0_sel:DWORD src1_sel:BYTE_0
	s_waitcnt vmcnt(0) lgkmcnt(0)
	v_lshlrev_b32_sdwa v40, v33, v36 dst_sel:DWORD dst_unused:UNUSED_PAD src0_sel:DWORD src1_sel:WORD_0
	v_add3_u32 v31, 0, v37, v31
	s_barrier
	buffer_gl0_inv
	v_mul_f32_e32 v37, v4, v14
	v_mul_f32_e32 v14, v23, v14
	;; [unrolled: 1-line block ×8, first 2 shown]
	v_fmac_f32_e32 v37, v23, v13
	v_fma_f32 v4, v4, v13, -v14
	v_fmac_f32_e32 v38, v25, v15
	v_fma_f32 v13, v27, v15, -v16
	;; [unrolled: 2-line block ×4, first 2 shown]
	v_add_f32_e32 v16, v37, v38
	v_sub_f32_e32 v17, v4, v13
	v_add_f32_e32 v18, v29, v4
	v_add_f32_e32 v4, v4, v13
	;; [unrolled: 1-line block ×3, first 2 shown]
	v_sub_f32_e32 v24, v5, v14
	v_add_f32_e32 v25, v30, v5
	v_add_f32_e32 v5, v5, v14
	;; [unrolled: 1-line block ×3, first 2 shown]
	v_sub_f32_e32 v19, v37, v38
	v_fma_f32 v16, -0.5, v16, v21
	v_add_f32_e32 v13, v18, v13
	v_fma_f32 v18, -0.5, v4, v29
	v_add_f32_e32 v20, v22, v41
	v_sub_f32_e32 v26, v41, v42
	v_fmac_f32_e32 v22, -0.5, v23
	v_fmac_f32_e32 v30, -0.5, v5
	v_add_f32_e32 v15, v15, v38
	v_fmamk_f32 v5, v17, 0xbf5db3d7, v16
	v_fmac_f32_e32 v16, 0x3f5db3d7, v17
	v_fmamk_f32 v17, v19, 0x3f5db3d7, v18
	v_fmac_f32_e32 v18, 0xbf5db3d7, v19
	v_add_f32_e32 v4, v20, v42
	v_add_f32_e32 v14, v25, v14
	v_fmamk_f32 v19, v24, 0xbf5db3d7, v22
	v_fmamk_f32 v20, v26, 0x3f5db3d7, v30
	v_fmac_f32_e32 v22, 0x3f5db3d7, v24
	v_fmac_f32_e32 v30, 0xbf5db3d7, v26
	ds_write2_b32 v11, v15, v5 offset1:6
	ds_write_b32 v11, v16 offset:48
	ds_write2_b32 v31, v4, v19 offset1:6
	ds_write_b32 v31, v22 offset:48
	s_waitcnt lgkmcnt(0)
	s_barrier
	buffer_gl0_inv
	ds_read2_b32 v[4:5], v6 offset1:243
	ds_read2_b32 v[21:22], v8 offset0:6 offset1:249
	ds_read2_b32 v[23:24], v10 offset0:12 offset1:255
	s_waitcnt lgkmcnt(0)
	s_barrier
	buffer_gl0_inv
	ds_write2_b32 v11, v13, v17 offset1:6
	ds_write_b32 v11, v18 offset:48
	ds_write2_b32 v31, v14, v20 offset1:6
	ds_write_b32 v31, v30 offset:48
	s_waitcnt lgkmcnt(0)
	s_barrier
	buffer_gl0_inv
	s_clause 0x1
	global_load_dwordx4 v[13:16], v39, s[8:9] offset:96
	global_load_dwordx4 v[17:20], v40, s[8:9] offset:96
	v_mov_b32_e32 v11, 0x97b5
	v_lshrrev_b16 v25, 1, v1
	v_mov_b32_e32 v29, 0xd8
	v_mul_lo_u16 v30, v9, 54
	ds_read2_b32 v[27:28], v10 offset0:12 offset1:255
	v_mul_u32_u24_sdwa v11, v25, v11 dst_sel:DWORD dst_unused:UNUSED_PAD src0_sel:WORD_0 src1_sel:DWORD
	ds_read2_b32 v[25:26], v8 offset0:6 offset1:249
	v_mul_u32_u24_sdwa v29, v32, v29 dst_sel:DWORD dst_unused:UNUSED_PAD src0_sel:WORD_0 src1_sel:DWORD
	v_mul_u32_u24_e32 v32, 0xd8, v34
	v_sub_nc_u16 v34, v0, v30
	v_lshlrev_b32_sdwa v30, v7, v35 dst_sel:DWORD dst_unused:UNUSED_PAD src0_sel:DWORD src1_sel:BYTE_0
	v_lshrrev_b32_e32 v11, 20, v11
	v_lshlrev_b32_sdwa v35, v7, v36 dst_sel:DWORD dst_unused:UNUSED_PAD src0_sel:DWORD src1_sel:WORD_0
	v_add3_u32 v37, 0, v29, v30
	ds_read2_b32 v[29:30], v6 offset1:243
	v_mul_lo_u16 v31, v11, 54
	v_add3_u32 v32, 0, v32, v35
	s_waitcnt vmcnt(0) lgkmcnt(0)
	s_barrier
	buffer_gl0_inv
	v_sub_nc_u16 v36, v1, v31
	v_lshlrev_b32_sdwa v31, v33, v34 dst_sel:DWORD dst_unused:UNUSED_PAD src0_sel:DWORD src1_sel:BYTE_0
	v_lshlrev_b32_sdwa v34, v7, v34 dst_sel:DWORD dst_unused:UNUSED_PAD src0_sel:DWORD src1_sel:BYTE_0
	v_lshlrev_b32_sdwa v35, v33, v36 dst_sel:DWORD dst_unused:UNUSED_PAD src0_sel:DWORD src1_sel:WORD_0
	v_lshlrev_b32_sdwa v36, v7, v36 dst_sel:DWORD dst_unused:UNUSED_PAD src0_sel:DWORD src1_sel:WORD_0
	v_mul_f32_e32 v38, v25, v14
	v_mul_f32_e32 v14, v21, v14
	;; [unrolled: 1-line block ×8, first 2 shown]
	v_fmac_f32_e32 v38, v21, v13
	v_fma_f32 v13, v25, v13, -v14
	v_fmac_f32_e32 v39, v23, v15
	v_fma_f32 v14, v27, v15, -v16
	;; [unrolled: 2-line block ×4, first 2 shown]
	v_add_f32_e32 v18, v38, v39
	v_sub_f32_e32 v19, v13, v14
	v_add_f32_e32 v20, v29, v13
	v_add_f32_e32 v13, v13, v14
	;; [unrolled: 1-line block ×3, first 2 shown]
	v_sub_f32_e32 v24, v15, v16
	v_add_f32_e32 v25, v30, v15
	v_add_f32_e32 v15, v15, v16
	;; [unrolled: 1-line block ×3, first 2 shown]
	v_sub_f32_e32 v21, v38, v39
	v_fma_f32 v4, -0.5, v18, v4
	v_fma_f32 v13, -0.5, v13, v29
	v_add_f32_e32 v22, v5, v40
	v_sub_f32_e32 v26, v40, v41
	v_fmac_f32_e32 v5, -0.5, v23
	v_fmac_f32_e32 v30, -0.5, v15
	v_add_f32_e32 v17, v17, v39
	v_add_f32_e32 v14, v20, v14
	v_fmamk_f32 v15, v19, 0xbf5db3d7, v4
	v_fmac_f32_e32 v4, 0x3f5db3d7, v19
	v_fmamk_f32 v19, v21, 0x3f5db3d7, v13
	v_fmac_f32_e32 v13, 0xbf5db3d7, v21
	v_add_f32_e32 v18, v22, v41
	v_add_f32_e32 v16, v25, v16
	v_fmamk_f32 v20, v24, 0xbf5db3d7, v5
	v_fmamk_f32 v27, v26, 0x3f5db3d7, v30
	v_fmac_f32_e32 v5, 0x3f5db3d7, v24
	v_fmac_f32_e32 v30, 0xbf5db3d7, v26
	ds_write2_b32 v37, v17, v15 offset1:18
	ds_write_b32 v37, v4 offset:144
	ds_write2_b32 v32, v18, v20 offset1:18
	ds_write_b32 v32, v5 offset:144
	s_waitcnt lgkmcnt(0)
	s_barrier
	buffer_gl0_inv
	ds_read2_b32 v[21:22], v6 offset1:243
	ds_read2_b32 v[23:24], v8 offset0:6 offset1:249
	ds_read2_b32 v[25:26], v10 offset0:12 offset1:255
	s_waitcnt lgkmcnt(0)
	s_barrier
	buffer_gl0_inv
	ds_write2_b32 v37, v14, v19 offset1:18
	ds_write_b32 v37, v13 offset:144
	ds_write2_b32 v32, v16, v27 offset1:18
	ds_write_b32 v32, v30 offset:144
	s_waitcnt lgkmcnt(0)
	s_barrier
	buffer_gl0_inv
	s_clause 0x1
	global_load_dwordx4 v[13:16], v31, s[8:9] offset:384
	global_load_dwordx4 v[17:20], v35, s[8:9] offset:384
	v_mov_b32_e32 v4, 0x6523
	v_add_nc_u32_e32 v5, 0xffffff5e, v0
	v_mov_b32_e32 v31, 0x288
	ds_read2_b32 v[27:28], v8 offset0:6 offset1:249
	ds_read2_b32 v[29:30], v10 offset0:12 offset1:255
	v_mul_u32_u24_sdwa v4, v1, v4 dst_sel:DWORD dst_unused:UNUSED_PAD src0_sel:WORD_0 src1_sel:DWORD
	v_cndmask_b32_e64 v35, v5, v0, s0
	v_mov_b32_e32 v5, 0
	v_mul_u32_u24_sdwa v9, v9, v31 dst_sel:DWORD dst_unused:UNUSED_PAD src0_sel:WORD_0 src1_sel:DWORD
	v_lshrrev_b32_e32 v37, 22, v4
	v_lshlrev_b32_e32 v4, 1, v35
	v_add3_u32 v9, 0, v9, v34
	v_mul_lo_u16 v38, 0xa2, v37
	v_lshlrev_b64 v[31:32], 3, v[4:5]
	v_mul_u32_u24_e32 v4, 0x288, v11
	v_sub_nc_u16 v11, v1, v38
	v_add3_u32 v4, 0, v4, v36
	v_add_co_u32 v31, s0, s8, v31
	v_lshlrev_b32_sdwa v38, v33, v11 dst_sel:DWORD dst_unused:UNUSED_PAD src0_sel:DWORD src1_sel:WORD_0
	ds_read2_b32 v[33:34], v6 offset1:243
	v_add_co_ci_u32_e64 v32, s0, s9, v32, s0
	s_waitcnt vmcnt(0) lgkmcnt(0)
	s_barrier
	buffer_gl0_inv
	v_cmp_lt_u32_e64 s0, 0xa1, v0
	v_lshlrev_b32_sdwa v7, v7, v11 dst_sel:DWORD dst_unused:UNUSED_PAD src0_sel:DWORD src1_sel:WORD_0
	v_mul_f32_e32 v36, v27, v14
	v_mul_f32_e32 v14, v23, v14
	;; [unrolled: 1-line block ×8, first 2 shown]
	v_fmac_f32_e32 v36, v23, v13
	v_fma_f32 v13, v27, v13, -v14
	v_fmac_f32_e32 v39, v25, v15
	v_fma_f32 v14, v29, v15, -v16
	;; [unrolled: 2-line block ×4, first 2 shown]
	v_add_f32_e32 v18, v36, v39
	v_sub_f32_e32 v19, v13, v14
	v_add_f32_e32 v20, v33, v13
	v_add_f32_e32 v13, v13, v14
	;; [unrolled: 1-line block ×3, first 2 shown]
	v_sub_f32_e32 v26, v15, v16
	v_add_f32_e32 v27, v34, v15
	v_add_f32_e32 v15, v15, v16
	v_add_f32_e32 v17, v21, v36
	v_sub_f32_e32 v23, v36, v39
	v_fma_f32 v18, -0.5, v18, v21
	v_fma_f32 v13, -0.5, v13, v33
	v_add_f32_e32 v24, v22, v40
	v_sub_f32_e32 v28, v40, v41
	v_fmac_f32_e32 v22, -0.5, v25
	v_fmac_f32_e32 v34, -0.5, v15
	v_add_f32_e32 v17, v17, v39
	v_add_f32_e32 v14, v20, v14
	v_fmamk_f32 v15, v19, 0xbf5db3d7, v18
	v_fmac_f32_e32 v18, 0x3f5db3d7, v19
	v_fmamk_f32 v19, v23, 0x3f5db3d7, v13
	v_fmac_f32_e32 v13, 0xbf5db3d7, v23
	v_add_f32_e32 v20, v24, v41
	v_add_f32_e32 v16, v27, v16
	v_fmamk_f32 v21, v26, 0xbf5db3d7, v22
	v_fmamk_f32 v27, v28, 0x3f5db3d7, v34
	v_fmac_f32_e32 v22, 0x3f5db3d7, v26
	v_fmac_f32_e32 v34, 0xbf5db3d7, v28
	ds_write2_b32 v9, v17, v15 offset1:54
	ds_write_b32 v9, v18 offset:432
	ds_write2_b32 v4, v20, v21 offset1:54
	ds_write_b32 v4, v22 offset:432
	s_waitcnt lgkmcnt(0)
	s_barrier
	buffer_gl0_inv
	ds_read2_b32 v[21:22], v6 offset1:243
	ds_read2_b32 v[23:24], v8 offset0:6 offset1:249
	ds_read2_b32 v[25:26], v10 offset0:12 offset1:255
	s_waitcnt lgkmcnt(0)
	s_barrier
	buffer_gl0_inv
	ds_write2_b32 v9, v14, v19 offset1:54
	ds_write_b32 v9, v13 offset:432
	ds_write2_b32 v4, v16, v27 offset1:54
	ds_write_b32 v4, v34 offset:432
	s_waitcnt lgkmcnt(0)
	s_barrier
	buffer_gl0_inv
	s_clause 0x1
	global_load_dwordx4 v[13:16], v[31:32], off offset:1248
	global_load_dwordx4 v[17:20], v38, s[8:9] offset:1248
	ds_read2_b32 v[27:28], v8 offset0:6 offset1:249
	ds_read2_b32 v[29:30], v10 offset0:12 offset1:255
	v_mul_u32_u24_e32 v31, 0x798, v37
	v_cndmask_b32_e64 v4, 0, 0x798, s0
	v_lshlrev_b32_e32 v9, 2, v35
	v_add3_u32 v33, 0, v31, v7
	ds_read2_b32 v[31:32], v6 offset1:243
	v_add3_u32 v4, 0, v4, v9
	s_waitcnt vmcnt(0) lgkmcnt(0)
	s_barrier
	buffer_gl0_inv
	v_mul_f32_e32 v7, v27, v14
	v_mul_f32_e32 v11, v29, v16
	;; [unrolled: 1-line block ×7, first 2 shown]
	v_fmac_f32_e32 v7, v23, v13
	v_fmac_f32_e32 v11, v25, v15
	v_mul_f32_e32 v20, v26, v20
	v_fmac_f32_e32 v16, v24, v17
	v_fmac_f32_e32 v34, v26, v19
	v_fma_f32 v9, v27, v13, -v9
	v_fma_f32 v13, v29, v15, -v14
	;; [unrolled: 1-line block ×3, first 2 shown]
	v_add_f32_e32 v18, v7, v11
	v_fma_f32 v15, v30, v19, -v20
	v_add_f32_e32 v17, v21, v7
	v_sub_f32_e32 v23, v7, v11
	v_add_f32_e32 v7, v16, v34
	v_sub_f32_e32 v19, v9, v13
	v_fma_f32 v18, -0.5, v18, v21
	v_add_f32_e32 v24, v22, v16
	v_sub_f32_e32 v25, v14, v15
	v_fmac_f32_e32 v22, -0.5, v7
	v_add_f32_e32 v20, v31, v9
	v_add_f32_e32 v9, v9, v13
	;; [unrolled: 1-line block ×3, first 2 shown]
	v_fmamk_f32 v17, v19, 0xbf5db3d7, v18
	v_fmac_f32_e32 v18, 0x3f5db3d7, v19
	v_add_f32_e32 v11, v24, v34
	v_fmamk_f32 v19, v25, 0xbf5db3d7, v22
	v_fmac_f32_e32 v22, 0x3f5db3d7, v25
	v_fma_f32 v24, -0.5, v9, v31
	ds_write2_b32 v4, v7, v17 offset1:162
	ds_write_b32 v4, v18 offset:1296
	ds_write2_b32 v33, v11, v19 offset1:162
	ds_write_b32 v33, v22 offset:1296
	s_waitcnt lgkmcnt(0)
	s_barrier
	buffer_gl0_inv
	ds_read2_b32 v[6:7], v6 offset1:243
	ds_read2_b32 v[8:9], v8 offset0:6 offset1:249
	ds_read2_b32 v[10:11], v10 offset0:12 offset1:255
	v_add_f32_e32 v21, v14, v15
	v_add_f32_e32 v14, v32, v14
	v_sub_f32_e32 v16, v16, v34
	v_add_f32_e32 v13, v20, v13
	v_fmamk_f32 v17, v23, 0x3f5db3d7, v24
	v_fmac_f32_e32 v32, -0.5, v21
	v_fmac_f32_e32 v24, 0xbf5db3d7, v23
	v_add_f32_e32 v14, v14, v15
	s_waitcnt lgkmcnt(0)
	s_barrier
	v_fmamk_f32 v15, v16, 0x3f5db3d7, v32
	v_fmac_f32_e32 v32, 0xbf5db3d7, v16
	buffer_gl0_inv
	ds_write2_b32 v4, v13, v17 offset1:162
	ds_write_b32 v4, v24 offset:1296
	ds_write2_b32 v33, v14, v15 offset1:162
	ds_write_b32 v33, v32 offset:1296
	s_waitcnt lgkmcnt(0)
	s_barrier
	buffer_gl0_inv
	s_and_saveexec_b32 s0, vcc_lo
	s_cbranch_execz .LBB0_13
; %bb.12:
	v_lshlrev_b32_e32 v4, 1, v1
	v_mul_hi_u32 v21, 0x86d90545, v1
	v_mov_b32_e32 v1, v5
	v_lshlrev_b64 v[13:14], 3, v[4:5]
	v_lshlrev_b32_e32 v4, 1, v0
	v_lshrrev_b32_e32 v21, 8, v21
	v_lshlrev_b64 v[17:18], 3, v[4:5]
	v_add_co_u32 v13, vcc_lo, s8, v13
	v_add_co_ci_u32_e32 v14, vcc_lo, s9, v14, vcc_lo
	v_add_co_u32 v13, vcc_lo, 0x800, v13
	v_add_co_ci_u32_e32 v14, vcc_lo, 0, v14, vcc_lo
	;; [unrolled: 2-line block ×3, first 2 shown]
	global_load_dwordx4 v[13:16], v[13:14], off offset:1792
	v_add_co_u32 v17, vcc_lo, 0x800, v4
	v_add_co_ci_u32_e32 v18, vcc_lo, 0, v18, vcc_lo
	v_mul_i32_i24_e32 v4, 0xffffffec, v0
	v_lshlrev_b64 v[0:1], 3, v[0:1]
	global_load_dwordx4 v[17:20], v[17:18], off offset:1792
	v_add_nc_u32_e32 v4, v12, v4
	v_add_co_u32 v12, vcc_lo, s2, v2
	v_add_co_ci_u32_e32 v22, vcc_lo, s3, v3, vcc_lo
	v_add_nc_u32_e32 v23, 0x780, v4
	v_add_nc_u32_e32 v24, 0xf00, v4
	v_add_co_u32 v0, vcc_lo, v12, v0
	ds_read2_b32 v[2:3], v4 offset1:243
	v_mul_u32_u24_e32 v4, 0x3cc, v21
	v_add_co_ci_u32_e32 v1, vcc_lo, v22, v1, vcc_lo
	ds_read2_b32 v[21:22], v23 offset0:6 offset1:249
	ds_read2_b32 v[23:24], v24 offset0:12 offset1:255
	v_add_co_u32 v25, vcc_lo, 0x800, v0
	v_lshlrev_b64 v[4:5], 3, v[4:5]
	v_add_co_ci_u32_e32 v26, vcc_lo, 0, v1, vcc_lo
	v_add_co_u32 v4, vcc_lo, v0, v4
	v_add_co_ci_u32_e32 v5, vcc_lo, v1, v5, vcc_lo
	v_add_co_u32 v27, vcc_lo, 0x1800, v0
	;; [unrolled: 2-line block ×4, first 2 shown]
	v_add_co_ci_u32_e32 v32, vcc_lo, 0, v5, vcc_lo
	s_waitcnt vmcnt(1)
	v_mul_f32_e32 v12, v9, v14
	v_mul_f32_e32 v33, v11, v16
	s_waitcnt lgkmcnt(1)
	v_mul_f32_e32 v14, v22, v14
	s_waitcnt lgkmcnt(0)
	v_mul_f32_e32 v16, v24, v16
	v_fma_f32 v12, v22, v13, -v12
	v_fma_f32 v22, v24, v15, -v33
	v_fmac_f32_e32 v14, v9, v13
	v_fmac_f32_e32 v16, v11, v15
	s_waitcnt vmcnt(0)
	v_mul_f32_e32 v9, v8, v18
	v_mul_f32_e32 v11, v10, v20
	;; [unrolled: 1-line block ×4, first 2 shown]
	v_add_f32_e32 v18, v12, v22
	v_sub_f32_e32 v20, v14, v16
	v_add_f32_e32 v24, v3, v12
	v_add_f32_e32 v33, v14, v16
	v_sub_f32_e32 v34, v12, v22
	v_add_f32_e32 v12, v7, v14
	v_fma_f32 v14, v21, v17, -v9
	v_fma_f32 v11, v23, v19, -v11
	v_fmac_f32_e32 v13, v8, v17
	v_fmac_f32_e32 v15, v10, v19
	v_fma_f32 v8, -0.5, v18, v3
	v_add_f32_e32 v9, v12, v16
	v_add_f32_e32 v3, v14, v11
	;; [unrolled: 1-line block ×4, first 2 shown]
	v_sub_f32_e32 v17, v13, v15
	v_add_f32_e32 v13, v6, v13
	v_sub_f32_e32 v19, v14, v11
	v_fma_f32 v3, -0.5, v3, v2
	v_fma_f32 v2, -0.5, v18, v6
	v_fma_f32 v7, -0.5, v33, v7
	v_add_f32_e32 v14, v16, v11
	v_add_f32_e32 v13, v13, v15
	v_fmamk_f32 v16, v17, 0xbf5db3d7, v3
	v_fmac_f32_e32 v3, 0x3f5db3d7, v17
	v_fmamk_f32 v15, v19, 0x3f5db3d7, v2
	v_fmac_f32_e32 v2, 0xbf5db3d7, v19
	v_add_f32_e32 v10, v24, v22
	v_fmamk_f32 v12, v20, 0xbf5db3d7, v8
	v_fmac_f32_e32 v8, 0x3f5db3d7, v20
	v_fmamk_f32 v11, v34, 0x3f5db3d7, v7
	v_fmac_f32_e32 v7, 0xbf5db3d7, v34
	global_store_dwordx2 v[0:1], v[13:14], off
	global_store_dwordx2 v[25:26], v[2:3], off offset:1840
	global_store_dwordx2 v[27:28], v[15:16], off offset:1632
	global_store_dwordx2 v[4:5], v[9:10], off offset:1944
	global_store_dwordx2 v[29:30], v[7:8], off offset:1736
	global_store_dwordx2 v[31:32], v[11:12], off offset:1528
.LBB0_13:
	s_endpgm
	.section	.rodata,"a",@progbits
	.p2align	6, 0x0
	.amdhsa_kernel fft_rtc_back_len1458_factors_6_3_3_3_3_3_wgs_243_tpt_243_halfLds_sp_ip_CI_unitstride_sbrr_dirReg
		.amdhsa_group_segment_fixed_size 0
		.amdhsa_private_segment_fixed_size 0
		.amdhsa_kernarg_size 88
		.amdhsa_user_sgpr_count 6
		.amdhsa_user_sgpr_private_segment_buffer 1
		.amdhsa_user_sgpr_dispatch_ptr 0
		.amdhsa_user_sgpr_queue_ptr 0
		.amdhsa_user_sgpr_kernarg_segment_ptr 1
		.amdhsa_user_sgpr_dispatch_id 0
		.amdhsa_user_sgpr_flat_scratch_init 0
		.amdhsa_user_sgpr_private_segment_size 0
		.amdhsa_wavefront_size32 1
		.amdhsa_uses_dynamic_stack 0
		.amdhsa_system_sgpr_private_segment_wavefront_offset 0
		.amdhsa_system_sgpr_workgroup_id_x 1
		.amdhsa_system_sgpr_workgroup_id_y 0
		.amdhsa_system_sgpr_workgroup_id_z 0
		.amdhsa_system_sgpr_workgroup_info 0
		.amdhsa_system_vgpr_workitem_id 0
		.amdhsa_next_free_vgpr 43
		.amdhsa_next_free_sgpr 21
		.amdhsa_reserve_vcc 1
		.amdhsa_reserve_flat_scratch 0
		.amdhsa_float_round_mode_32 0
		.amdhsa_float_round_mode_16_64 0
		.amdhsa_float_denorm_mode_32 3
		.amdhsa_float_denorm_mode_16_64 3
		.amdhsa_dx10_clamp 1
		.amdhsa_ieee_mode 1
		.amdhsa_fp16_overflow 0
		.amdhsa_workgroup_processor_mode 1
		.amdhsa_memory_ordered 1
		.amdhsa_forward_progress 0
		.amdhsa_shared_vgpr_count 0
		.amdhsa_exception_fp_ieee_invalid_op 0
		.amdhsa_exception_fp_denorm_src 0
		.amdhsa_exception_fp_ieee_div_zero 0
		.amdhsa_exception_fp_ieee_overflow 0
		.amdhsa_exception_fp_ieee_underflow 0
		.amdhsa_exception_fp_ieee_inexact 0
		.amdhsa_exception_int_div_zero 0
	.end_amdhsa_kernel
	.text
.Lfunc_end0:
	.size	fft_rtc_back_len1458_factors_6_3_3_3_3_3_wgs_243_tpt_243_halfLds_sp_ip_CI_unitstride_sbrr_dirReg, .Lfunc_end0-fft_rtc_back_len1458_factors_6_3_3_3_3_3_wgs_243_tpt_243_halfLds_sp_ip_CI_unitstride_sbrr_dirReg
                                        ; -- End function
	.section	.AMDGPU.csdata,"",@progbits
; Kernel info:
; codeLenInByte = 4664
; NumSgprs: 23
; NumVgprs: 43
; ScratchSize: 0
; MemoryBound: 0
; FloatMode: 240
; IeeeMode: 1
; LDSByteSize: 0 bytes/workgroup (compile time only)
; SGPRBlocks: 2
; VGPRBlocks: 5
; NumSGPRsForWavesPerEU: 23
; NumVGPRsForWavesPerEU: 43
; Occupancy: 16
; WaveLimiterHint : 1
; COMPUTE_PGM_RSRC2:SCRATCH_EN: 0
; COMPUTE_PGM_RSRC2:USER_SGPR: 6
; COMPUTE_PGM_RSRC2:TRAP_HANDLER: 0
; COMPUTE_PGM_RSRC2:TGID_X_EN: 1
; COMPUTE_PGM_RSRC2:TGID_Y_EN: 0
; COMPUTE_PGM_RSRC2:TGID_Z_EN: 0
; COMPUTE_PGM_RSRC2:TIDIG_COMP_CNT: 0
	.text
	.p2alignl 6, 3214868480
	.fill 48, 4, 3214868480
	.type	__hip_cuid_29a0bdbbf55354d0,@object ; @__hip_cuid_29a0bdbbf55354d0
	.section	.bss,"aw",@nobits
	.globl	__hip_cuid_29a0bdbbf55354d0
__hip_cuid_29a0bdbbf55354d0:
	.byte	0                               ; 0x0
	.size	__hip_cuid_29a0bdbbf55354d0, 1

	.ident	"AMD clang version 19.0.0git (https://github.com/RadeonOpenCompute/llvm-project roc-6.4.0 25133 c7fe45cf4b819c5991fe208aaa96edf142730f1d)"
	.section	".note.GNU-stack","",@progbits
	.addrsig
	.addrsig_sym __hip_cuid_29a0bdbbf55354d0
	.amdgpu_metadata
---
amdhsa.kernels:
  - .args:
      - .actual_access:  read_only
        .address_space:  global
        .offset:         0
        .size:           8
        .value_kind:     global_buffer
      - .offset:         8
        .size:           8
        .value_kind:     by_value
      - .actual_access:  read_only
        .address_space:  global
        .offset:         16
        .size:           8
        .value_kind:     global_buffer
      - .actual_access:  read_only
        .address_space:  global
        .offset:         24
        .size:           8
        .value_kind:     global_buffer
      - .offset:         32
        .size:           8
        .value_kind:     by_value
      - .actual_access:  read_only
        .address_space:  global
        .offset:         40
        .size:           8
        .value_kind:     global_buffer
      - .actual_access:  read_only
        .address_space:  global
        .offset:         48
        .size:           8
        .value_kind:     global_buffer
      - .offset:         56
        .size:           4
        .value_kind:     by_value
      - .actual_access:  read_only
        .address_space:  global
        .offset:         64
        .size:           8
        .value_kind:     global_buffer
      - .actual_access:  read_only
        .address_space:  global
        .offset:         72
        .size:           8
        .value_kind:     global_buffer
      - .address_space:  global
        .offset:         80
        .size:           8
        .value_kind:     global_buffer
    .group_segment_fixed_size: 0
    .kernarg_segment_align: 8
    .kernarg_segment_size: 88
    .language:       OpenCL C
    .language_version:
      - 2
      - 0
    .max_flat_workgroup_size: 243
    .name:           fft_rtc_back_len1458_factors_6_3_3_3_3_3_wgs_243_tpt_243_halfLds_sp_ip_CI_unitstride_sbrr_dirReg
    .private_segment_fixed_size: 0
    .sgpr_count:     23
    .sgpr_spill_count: 0
    .symbol:         fft_rtc_back_len1458_factors_6_3_3_3_3_3_wgs_243_tpt_243_halfLds_sp_ip_CI_unitstride_sbrr_dirReg.kd
    .uniform_work_group_size: 1
    .uses_dynamic_stack: false
    .vgpr_count:     43
    .vgpr_spill_count: 0
    .wavefront_size: 32
    .workgroup_processor_mode: 1
amdhsa.target:   amdgcn-amd-amdhsa--gfx1030
amdhsa.version:
  - 1
  - 2
...

	.end_amdgpu_metadata
